;; amdgpu-corpus repo=ROCm/rocFFT kind=compiled arch=gfx906 opt=O3
	.text
	.amdgcn_target "amdgcn-amd-amdhsa--gfx906"
	.amdhsa_code_object_version 6
	.protected	fft_rtc_back_len1280_factors_16_5_16_wgs_80_tpt_80_halfLds_sp_ip_CI_sbrr_dirReg ; -- Begin function fft_rtc_back_len1280_factors_16_5_16_wgs_80_tpt_80_halfLds_sp_ip_CI_sbrr_dirReg
	.globl	fft_rtc_back_len1280_factors_16_5_16_wgs_80_tpt_80_halfLds_sp_ip_CI_sbrr_dirReg
	.p2align	8
	.type	fft_rtc_back_len1280_factors_16_5_16_wgs_80_tpt_80_halfLds_sp_ip_CI_sbrr_dirReg,@function
fft_rtc_back_len1280_factors_16_5_16_wgs_80_tpt_80_halfLds_sp_ip_CI_sbrr_dirReg: ; @fft_rtc_back_len1280_factors_16_5_16_wgs_80_tpt_80_halfLds_sp_ip_CI_sbrr_dirReg
; %bb.0:
	s_load_dwordx2 s[14:15], s[4:5], 0x18
	s_load_dwordx4 s[8:11], s[4:5], 0x0
	s_load_dwordx2 s[12:13], s[4:5], 0x50
	v_mul_u32_u24_e32 v1, 0x334, v0
	v_add_u32_sdwa v5, s6, v1 dst_sel:DWORD dst_unused:UNUSED_PAD src0_sel:DWORD src1_sel:WORD_1
	s_waitcnt lgkmcnt(0)
	s_load_dwordx2 s[2:3], s[14:15], 0x0
	v_cmp_lt_u64_e64 s[0:1], s[10:11], 2
	v_mov_b32_e32 v3, 0
	v_mov_b32_e32 v1, 0
	;; [unrolled: 1-line block ×3, first 2 shown]
	s_and_b64 vcc, exec, s[0:1]
	v_mov_b32_e32 v2, 0
	s_cbranch_vccnz .LBB0_8
; %bb.1:
	s_load_dwordx2 s[0:1], s[4:5], 0x10
	s_add_u32 s6, s14, 8
	s_addc_u32 s7, s15, 0
	v_mov_b32_e32 v1, 0
	v_mov_b32_e32 v2, 0
	s_waitcnt lgkmcnt(0)
	s_add_u32 s16, s0, 8
	s_addc_u32 s17, s1, 0
	s_mov_b64 s[18:19], 1
.LBB0_2:                                ; =>This Inner Loop Header: Depth=1
	s_load_dwordx2 s[20:21], s[16:17], 0x0
                                        ; implicit-def: $vgpr7_vgpr8
	s_waitcnt lgkmcnt(0)
	v_or_b32_e32 v4, s21, v6
	v_cmp_ne_u64_e32 vcc, 0, v[3:4]
	s_and_saveexec_b64 s[0:1], vcc
	s_xor_b64 s[22:23], exec, s[0:1]
	s_cbranch_execz .LBB0_4
; %bb.3:                                ;   in Loop: Header=BB0_2 Depth=1
	v_cvt_f32_u32_e32 v4, s20
	v_cvt_f32_u32_e32 v7, s21
	s_sub_u32 s0, 0, s20
	s_subb_u32 s1, 0, s21
	v_mac_f32_e32 v4, 0x4f800000, v7
	v_rcp_f32_e32 v4, v4
	v_mul_f32_e32 v4, 0x5f7ffffc, v4
	v_mul_f32_e32 v7, 0x2f800000, v4
	v_trunc_f32_e32 v7, v7
	v_mac_f32_e32 v4, 0xcf800000, v7
	v_cvt_u32_f32_e32 v7, v7
	v_cvt_u32_f32_e32 v4, v4
	v_mul_lo_u32 v8, s0, v7
	v_mul_hi_u32 v9, s0, v4
	v_mul_lo_u32 v11, s1, v4
	v_mul_lo_u32 v10, s0, v4
	v_add_u32_e32 v8, v9, v8
	v_add_u32_e32 v8, v8, v11
	v_mul_hi_u32 v9, v4, v10
	v_mul_lo_u32 v11, v4, v8
	v_mul_hi_u32 v13, v4, v8
	v_mul_hi_u32 v12, v7, v10
	v_mul_lo_u32 v10, v7, v10
	v_mul_hi_u32 v14, v7, v8
	v_add_co_u32_e32 v9, vcc, v9, v11
	v_addc_co_u32_e32 v11, vcc, 0, v13, vcc
	v_mul_lo_u32 v8, v7, v8
	v_add_co_u32_e32 v9, vcc, v9, v10
	v_addc_co_u32_e32 v9, vcc, v11, v12, vcc
	v_addc_co_u32_e32 v10, vcc, 0, v14, vcc
	v_add_co_u32_e32 v8, vcc, v9, v8
	v_addc_co_u32_e32 v9, vcc, 0, v10, vcc
	v_add_co_u32_e32 v4, vcc, v4, v8
	v_addc_co_u32_e32 v7, vcc, v7, v9, vcc
	v_mul_lo_u32 v8, s0, v7
	v_mul_hi_u32 v9, s0, v4
	v_mul_lo_u32 v10, s1, v4
	v_mul_lo_u32 v11, s0, v4
	v_add_u32_e32 v8, v9, v8
	v_add_u32_e32 v8, v8, v10
	v_mul_lo_u32 v12, v4, v8
	v_mul_hi_u32 v13, v4, v11
	v_mul_hi_u32 v14, v4, v8
	;; [unrolled: 1-line block ×3, first 2 shown]
	v_mul_lo_u32 v11, v7, v11
	v_mul_hi_u32 v9, v7, v8
	v_add_co_u32_e32 v12, vcc, v13, v12
	v_addc_co_u32_e32 v13, vcc, 0, v14, vcc
	v_mul_lo_u32 v8, v7, v8
	v_add_co_u32_e32 v11, vcc, v12, v11
	v_addc_co_u32_e32 v10, vcc, v13, v10, vcc
	v_addc_co_u32_e32 v9, vcc, 0, v9, vcc
	v_add_co_u32_e32 v8, vcc, v10, v8
	v_addc_co_u32_e32 v9, vcc, 0, v9, vcc
	v_add_co_u32_e32 v4, vcc, v4, v8
	v_addc_co_u32_e32 v9, vcc, v7, v9, vcc
	v_mad_u64_u32 v[7:8], s[0:1], v5, v9, 0
	v_mul_hi_u32 v10, v5, v4
	v_add_co_u32_e32 v11, vcc, v10, v7
	v_addc_co_u32_e32 v12, vcc, 0, v8, vcc
	v_mad_u64_u32 v[7:8], s[0:1], v6, v4, 0
	v_mad_u64_u32 v[9:10], s[0:1], v6, v9, 0
	v_add_co_u32_e32 v4, vcc, v11, v7
	v_addc_co_u32_e32 v4, vcc, v12, v8, vcc
	v_addc_co_u32_e32 v7, vcc, 0, v10, vcc
	v_add_co_u32_e32 v4, vcc, v4, v9
	v_addc_co_u32_e32 v9, vcc, 0, v7, vcc
	v_mul_lo_u32 v10, s21, v4
	v_mul_lo_u32 v11, s20, v9
	v_mad_u64_u32 v[7:8], s[0:1], s20, v4, 0
	v_add3_u32 v8, v8, v11, v10
	v_sub_u32_e32 v10, v6, v8
	v_mov_b32_e32 v11, s21
	v_sub_co_u32_e32 v7, vcc, v5, v7
	v_subb_co_u32_e64 v10, s[0:1], v10, v11, vcc
	v_subrev_co_u32_e64 v11, s[0:1], s20, v7
	v_subbrev_co_u32_e64 v10, s[0:1], 0, v10, s[0:1]
	v_cmp_le_u32_e64 s[0:1], s21, v10
	v_cndmask_b32_e64 v12, 0, -1, s[0:1]
	v_cmp_le_u32_e64 s[0:1], s20, v11
	v_cndmask_b32_e64 v11, 0, -1, s[0:1]
	v_cmp_eq_u32_e64 s[0:1], s21, v10
	v_cndmask_b32_e64 v10, v12, v11, s[0:1]
	v_add_co_u32_e64 v11, s[0:1], 2, v4
	v_addc_co_u32_e64 v12, s[0:1], 0, v9, s[0:1]
	v_add_co_u32_e64 v13, s[0:1], 1, v4
	v_addc_co_u32_e64 v14, s[0:1], 0, v9, s[0:1]
	v_subb_co_u32_e32 v8, vcc, v6, v8, vcc
	v_cmp_ne_u32_e64 s[0:1], 0, v10
	v_cmp_le_u32_e32 vcc, s21, v8
	v_cndmask_b32_e64 v10, v14, v12, s[0:1]
	v_cndmask_b32_e64 v12, 0, -1, vcc
	v_cmp_le_u32_e32 vcc, s20, v7
	v_cndmask_b32_e64 v7, 0, -1, vcc
	v_cmp_eq_u32_e32 vcc, s21, v8
	v_cndmask_b32_e32 v7, v12, v7, vcc
	v_cmp_ne_u32_e32 vcc, 0, v7
	v_cndmask_b32_e64 v7, v13, v11, s[0:1]
	v_cndmask_b32_e32 v8, v9, v10, vcc
	v_cndmask_b32_e32 v7, v4, v7, vcc
.LBB0_4:                                ;   in Loop: Header=BB0_2 Depth=1
	s_andn2_saveexec_b64 s[0:1], s[22:23]
	s_cbranch_execz .LBB0_6
; %bb.5:                                ;   in Loop: Header=BB0_2 Depth=1
	v_cvt_f32_u32_e32 v4, s20
	s_sub_i32 s22, 0, s20
	v_rcp_iflag_f32_e32 v4, v4
	v_mul_f32_e32 v4, 0x4f7ffffe, v4
	v_cvt_u32_f32_e32 v4, v4
	v_mul_lo_u32 v7, s22, v4
	v_mul_hi_u32 v7, v4, v7
	v_add_u32_e32 v4, v4, v7
	v_mul_hi_u32 v4, v5, v4
	v_mul_lo_u32 v7, v4, s20
	v_add_u32_e32 v8, 1, v4
	v_sub_u32_e32 v7, v5, v7
	v_subrev_u32_e32 v9, s20, v7
	v_cmp_le_u32_e32 vcc, s20, v7
	v_cndmask_b32_e32 v7, v7, v9, vcc
	v_cndmask_b32_e32 v4, v4, v8, vcc
	v_add_u32_e32 v8, 1, v4
	v_cmp_le_u32_e32 vcc, s20, v7
	v_cndmask_b32_e32 v7, v4, v8, vcc
	v_mov_b32_e32 v8, v3
.LBB0_6:                                ;   in Loop: Header=BB0_2 Depth=1
	s_or_b64 exec, exec, s[0:1]
	v_mul_lo_u32 v4, v8, s20
	v_mul_lo_u32 v11, v7, s21
	v_mad_u64_u32 v[9:10], s[0:1], v7, s20, 0
	s_load_dwordx2 s[0:1], s[6:7], 0x0
	s_add_u32 s18, s18, 1
	v_add3_u32 v4, v10, v11, v4
	v_sub_co_u32_e32 v5, vcc, v5, v9
	v_subb_co_u32_e32 v4, vcc, v6, v4, vcc
	s_waitcnt lgkmcnt(0)
	v_mul_lo_u32 v4, s0, v4
	v_mul_lo_u32 v6, s1, v5
	v_mad_u64_u32 v[1:2], s[0:1], s0, v5, v[1:2]
	s_addc_u32 s19, s19, 0
	s_add_u32 s6, s6, 8
	v_add3_u32 v2, v6, v2, v4
	v_mov_b32_e32 v4, s10
	v_mov_b32_e32 v5, s11
	s_addc_u32 s7, s7, 0
	v_cmp_ge_u64_e32 vcc, s[18:19], v[4:5]
	s_add_u32 s16, s16, 8
	s_addc_u32 s17, s17, 0
	s_cbranch_vccnz .LBB0_9
; %bb.7:                                ;   in Loop: Header=BB0_2 Depth=1
	v_mov_b32_e32 v5, v7
	v_mov_b32_e32 v6, v8
	s_branch .LBB0_2
.LBB0_8:
	v_mov_b32_e32 v8, v6
	v_mov_b32_e32 v7, v5
.LBB0_9:
	s_lshl_b64 s[0:1], s[10:11], 3
	s_add_u32 s0, s14, s0
	s_addc_u32 s1, s15, s1
	s_load_dwordx2 s[6:7], s[0:1], 0x0
	s_load_dwordx2 s[10:11], s[4:5], 0x20
                                        ; implicit-def: $vgpr42
                                        ; implicit-def: $vgpr41
                                        ; implicit-def: $vgpr12
	s_waitcnt lgkmcnt(0)
	v_mad_u64_u32 v[1:2], s[0:1], s6, v7, v[1:2]
	s_mov_b32 s0, 0x3333334
	v_mul_lo_u32 v3, s6, v8
	v_mul_lo_u32 v4, s7, v7
	v_mul_hi_u32 v5, v0, s0
	v_cmp_gt_u64_e32 vcc, s[10:11], v[7:8]
	v_cmp_le_u64_e64 s[0:1], s[10:11], v[7:8]
	v_add3_u32 v2, v4, v2, v3
	v_mul_u32_u24_e32 v3, 0x50, v5
	v_sub_u32_e32 v40, v0, v3
                                        ; implicit-def: $sgpr6_sgpr7
                                        ; implicit-def: $sgpr10
	s_and_saveexec_b64 s[4:5], s[0:1]
	s_xor_b64 s[0:1], exec, s[4:5]
; %bb.10:
	v_add_u32_e32 v42, 0x50, v40
	v_add_u32_e32 v41, 0xa0, v40
	;; [unrolled: 1-line block ×3, first 2 shown]
	s_mov_b32 s10, 0
	s_mov_b64 s[6:7], 0
; %bb.11:
	s_or_saveexec_b64 s[4:5], s[0:1]
	v_mov_b32_e32 v4, s6
	v_lshlrev_b64 v[0:1], 3, v[1:2]
	v_mov_b32_e32 v14, s7
	v_mov_b32_e32 v26, s7
	;; [unrolled: 1-line block ×16, first 2 shown]
                                        ; implicit-def: $vgpr11
                                        ; implicit-def: $vgpr7
                                        ; implicit-def: $vgpr18
                                        ; implicit-def: $vgpr3
                                        ; implicit-def: $vgpr32
                                        ; implicit-def: $vgpr9
                                        ; implicit-def: $vgpr30
                                        ; implicit-def: $vgpr34
	s_xor_b64 exec, exec, s[4:5]
	s_cbranch_execz .LBB0_13
; %bb.12:
	v_mad_u64_u32 v[2:3], s[0:1], s2, v40, 0
	v_add_u32_e32 v42, 0x50, v40
	v_mov_b32_e32 v6, s13
	v_mad_u64_u32 v[3:4], s[0:1], s3, v40, v[3:4]
	v_mad_u64_u32 v[4:5], s[0:1], s2, v42, 0
	v_add_co_u32_e64 v10, s[0:1], s12, v0
	v_addc_co_u32_e64 v11, s[0:1], v6, v1, s[0:1]
	v_mad_u64_u32 v[5:6], s[0:1], s3, v42, v[5:6]
	v_add_u32_e32 v41, 0xa0, v40
	v_mad_u64_u32 v[6:7], s[0:1], s2, v41, 0
	v_lshlrev_b64 v[2:3], 3, v[2:3]
	v_add_u32_e32 v12, 0xf0, v40
	v_add_co_u32_e64 v33, s[0:1], v10, v2
	v_addc_co_u32_e64 v34, s[0:1], v11, v3, s[0:1]
	v_lshlrev_b64 v[2:3], 3, v[4:5]
	v_mov_b32_e32 v4, v7
	v_mad_u64_u32 v[4:5], s[0:1], s3, v41, v[4:5]
	v_mad_u64_u32 v[8:9], s[0:1], s2, v12, 0
	v_add_co_u32_e64 v35, s[0:1], v10, v2
	v_mov_b32_e32 v7, v4
	v_mov_b32_e32 v4, v9
	v_addc_co_u32_e64 v36, s[0:1], v11, v3, s[0:1]
	v_lshlrev_b64 v[2:3], 3, v[6:7]
	v_mad_u64_u32 v[4:5], s[0:1], s3, v12, v[4:5]
	v_add_u32_e32 v7, 0x140, v40
	v_mad_u64_u32 v[5:6], s[0:1], s2, v7, 0
	v_add_co_u32_e64 v37, s[0:1], v10, v2
	v_mov_b32_e32 v9, v4
	v_mov_b32_e32 v4, v6
	v_addc_co_u32_e64 v38, s[0:1], v11, v3, s[0:1]
	v_lshlrev_b64 v[2:3], 3, v[8:9]
	v_mad_u64_u32 v[6:7], s[0:1], s3, v7, v[4:5]
	v_add_u32_e32 v9, 0x190, v40
	v_mad_u64_u32 v[7:8], s[0:1], s2, v9, 0
	v_add_co_u32_e64 v43, s[0:1], v10, v2
	v_mov_b32_e32 v4, v8
	v_addc_co_u32_e64 v44, s[0:1], v11, v3, s[0:1]
	v_lshlrev_b64 v[2:3], 3, v[5:6]
	v_mad_u64_u32 v[4:5], s[0:1], s3, v9, v[4:5]
	v_add_u32_e32 v9, 0x1e0, v40
	v_mad_u64_u32 v[5:6], s[0:1], s2, v9, 0
	v_add_co_u32_e64 v45, s[0:1], v10, v2
	v_mov_b32_e32 v8, v4
	v_mov_b32_e32 v4, v6
	v_addc_co_u32_e64 v46, s[0:1], v11, v3, s[0:1]
	v_lshlrev_b64 v[2:3], 3, v[7:8]
	v_mad_u64_u32 v[6:7], s[0:1], s3, v9, v[4:5]
	v_add_u32_e32 v9, 0x230, v40
	v_mad_u64_u32 v[7:8], s[0:1], s2, v9, 0
	v_add_co_u32_e64 v47, s[0:1], v10, v2
	v_mov_b32_e32 v4, v8
	v_addc_co_u32_e64 v48, s[0:1], v11, v3, s[0:1]
	v_lshlrev_b64 v[2:3], 3, v[5:6]
	v_mad_u64_u32 v[4:5], s[0:1], s3, v9, v[4:5]
	v_or_b32_e32 v9, 0x280, v40
	v_mad_u64_u32 v[5:6], s[0:1], s2, v9, 0
	v_add_co_u32_e64 v49, s[0:1], v10, v2
	v_mov_b32_e32 v8, v4
	v_mov_b32_e32 v4, v6
	v_addc_co_u32_e64 v50, s[0:1], v11, v3, s[0:1]
	v_lshlrev_b64 v[2:3], 3, v[7:8]
	v_mad_u64_u32 v[6:7], s[0:1], s3, v9, v[4:5]
	v_add_u32_e32 v9, 0x2d0, v40
	v_mad_u64_u32 v[7:8], s[0:1], s2, v9, 0
	v_add_co_u32_e64 v51, s[0:1], v10, v2
	v_mov_b32_e32 v4, v8
	v_addc_co_u32_e64 v52, s[0:1], v11, v3, s[0:1]
	v_lshlrev_b64 v[2:3], 3, v[5:6]
	v_mad_u64_u32 v[4:5], s[0:1], s3, v9, v[4:5]
	v_add_u32_e32 v9, 0x320, v40
	v_mad_u64_u32 v[5:6], s[0:1], s2, v9, 0
	v_add_co_u32_e64 v53, s[0:1], v10, v2
	v_mov_b32_e32 v8, v4
	v_mov_b32_e32 v4, v6
	v_addc_co_u32_e64 v54, s[0:1], v11, v3, s[0:1]
	v_lshlrev_b64 v[2:3], 3, v[7:8]
	v_mad_u64_u32 v[6:7], s[0:1], s3, v9, v[4:5]
	v_add_u32_e32 v9, 0x370, v40
	v_mad_u64_u32 v[7:8], s[0:1], s2, v9, 0
	v_add_co_u32_e64 v55, s[0:1], v10, v2
	v_mov_b32_e32 v4, v8
	v_addc_co_u32_e64 v56, s[0:1], v11, v3, s[0:1]
	v_lshlrev_b64 v[2:3], 3, v[5:6]
	v_mad_u64_u32 v[4:5], s[0:1], s3, v9, v[4:5]
	v_add_u32_e32 v9, 0x3c0, v40
	;; [unrolled: 15-line block ×3, first 2 shown]
	v_mad_u64_u32 v[5:6], s[0:1], s2, v9, 0
	v_add_co_u32_e64 v61, s[0:1], v10, v2
	v_mov_b32_e32 v8, v4
	v_mov_b32_e32 v4, v6
	v_addc_co_u32_e64 v62, s[0:1], v11, v3, s[0:1]
	v_lshlrev_b64 v[2:3], 3, v[7:8]
	v_mad_u64_u32 v[6:7], s[0:1], s3, v9, v[4:5]
	v_add_u32_e32 v9, 0x4b0, v40
	v_mad_u64_u32 v[7:8], s[0:1], s2, v9, 0
	v_add_co_u32_e64 v63, s[0:1], v10, v2
	v_mov_b32_e32 v4, v8
	v_addc_co_u32_e64 v64, s[0:1], v11, v3, s[0:1]
	v_lshlrev_b64 v[2:3], 3, v[5:6]
	v_mad_u64_u32 v[4:5], s[0:1], s3, v9, v[4:5]
	v_add_co_u32_e64 v65, s[0:1], v10, v2
	v_mov_b32_e32 v8, v4
	v_addc_co_u32_e64 v66, s[0:1], v11, v3, s[0:1]
	v_lshlrev_b64 v[2:3], 3, v[7:8]
	v_mov_b32_e32 v39, v40
	v_add_co_u32_e64 v67, s[0:1], v10, v2
	v_addc_co_u32_e64 v68, s[0:1], v11, v3, s[0:1]
	global_load_dwordx2 v[4:5], v[33:34], off
	global_load_dwordx2 v[21:22], v[35:36], off
	;; [unrolled: 1-line block ×15, first 2 shown]
                                        ; kill: killed $vgpr53 killed $vgpr54
                                        ; kill: killed $vgpr43 killed $vgpr44
                                        ; kill: killed $vgpr57 killed $vgpr58
                                        ; kill: killed $vgpr45 killed $vgpr46
                                        ; kill: killed $vgpr61 killed $vgpr62
                                        ; kill: killed $vgpr37 killed $vgpr38
                                        ; kill: killed $vgpr47 killed $vgpr48
                                        ; kill: killed $vgpr65 killed $vgpr66
                                        ; kill: killed $vgpr55 killed $vgpr56
                                        ; kill: killed $vgpr35 killed $vgpr36
                                        ; kill: killed $vgpr49 killed $vgpr50
                                        ; kill: killed $vgpr59 killed $vgpr60
                                        ; kill: killed $vgpr51 killed $vgpr52
                                        ; kill: killed $vgpr33 killed $vgpr34
                                        ; kill: killed $vgpr63 killed $vgpr64
	global_load_dwordx2 v[33:34], v[67:68], off
.LBB0_13:
	s_or_b64 exec, exec, s[4:5]
	s_waitcnt vmcnt(5)
	v_sub_f32_e32 v18, v26, v18
	v_sub_f32_e32 v10, v4, v10
	s_waitcnt vmcnt(3)
	v_sub_f32_e32 v32, v14, v32
	v_sub_f32_e32 v17, v25, v17
	v_fma_f32 v35, v26, 2.0, -v18
	s_waitcnt vmcnt(1)
	v_sub_f32_e32 v26, v27, v29
	v_sub_f32_e32 v7, v22, v7
	;; [unrolled: 1-line block ×4, first 2 shown]
	v_fma_f32 v25, v25, 2.0, -v17
	v_sub_f32_e32 v29, v28, v30
	v_fma_f32 v27, v27, 2.0, -v26
	v_sub_f32_e32 v30, v21, v6
	v_sub_f32_e32 v9, v24, v9
	v_fma_f32 v43, v16, 2.0, -v3
	s_waitcnt vmcnt(0)
	v_sub_f32_e32 v16, v19, v33
	v_sub_f32_e32 v33, v20, v34
	v_add_f32_e32 v34, v10, v32
	v_sub_f32_e32 v37, v7, v8
	v_fma_f32 v4, v4, 2.0, -v10
	v_fma_f32 v28, v28, 2.0, -v29
	v_fma_f32 v21, v21, 2.0, -v30
	v_fma_f32 v22, v22, 2.0, -v7
	v_fma_f32 v23, v23, 2.0, -v8
	v_fma_f32 v24, v24, 2.0, -v9
	v_sub_f32_e32 v36, v15, v2
	v_fma_f32 v19, v19, 2.0, -v16
	v_fma_f32 v10, v10, 2.0, -v34
	v_sub_f32_e32 v2, v25, v27
	v_add_f32_e32 v27, v17, v29
	v_add_f32_e32 v9, v30, v9
	v_fma_f32 v7, v7, 2.0, -v37
	v_sub_f32_e32 v16, v3, v16
	v_sub_f32_e32 v31, v13, v31
	v_fma_f32 v15, v15, 2.0, -v36
	v_sub_f32_e32 v6, v35, v28
	v_sub_f32_e32 v26, v18, v26
	v_fma_f32 v28, v17, 2.0, -v27
	v_sub_f32_e32 v17, v21, v23
	v_fma_f32 v8, v30, 2.0, -v9
	v_add_f32_e32 v46, v36, v33
	v_fma_f32 v3, v3, 2.0, -v16
	v_mov_b32_e32 v48, v10
	v_mov_b32_e32 v23, v7
	v_fma_f32 v13, v13, 2.0, -v31
	v_fma_f32 v44, v18, 2.0, -v26
	v_sub_f32_e32 v18, v22, v24
	v_sub_f32_e32 v38, v15, v19
	v_fma_f32 v24, v36, 2.0, -v46
	v_fmac_f32_e32 v48, 0xbf3504f3, v28
	v_mov_b32_e32 v19, v8
	v_fmac_f32_e32 v23, 0xbf3504f3, v3
	v_mov_b32_e32 v29, v37
	v_sub_f32_e32 v13, v4, v13
	v_fmac_f32_e32 v48, 0x3f3504f3, v44
	v_fmac_f32_e32 v19, 0xbf3504f3, v24
	;; [unrolled: 1-line block ×3, first 2 shown]
	v_mov_b32_e32 v24, v9
	v_fmac_f32_e32 v29, 0x3f3504f3, v16
	v_fma_f32 v20, v20, 2.0, -v33
	v_fma_f32 v4, v4, 2.0, -v13
	;; [unrolled: 1-line block ×6, first 2 shown]
	v_fmac_f32_e32 v19, 0x3f3504f3, v3
	v_fmac_f32_e32 v24, 0x3f3504f3, v46
	;; [unrolled: 1-line block ×3, first 2 shown]
	v_mov_b32_e32 v46, v34
	v_sub_f32_e32 v45, v43, v20
	v_sub_f32_e32 v25, v4, v25
	;; [unrolled: 1-line block ×3, first 2 shown]
	v_fma_f32 v30, v8, 2.0, -v19
	v_mov_b32_e32 v8, v10
	v_fmac_f32_e32 v46, 0x3f3504f3, v27
	v_fma_f32 v4, v4, 2.0, -v25
	v_add_f32_e32 v49, v13, v6
	v_fma_f32 v15, v21, 2.0, -v20
	v_fma_f32 v33, v7, 2.0, -v23
	v_fmac_f32_e32 v8, 0xbf6c835e, v30
	v_fmac_f32_e32 v46, 0x3f3504f3, v26
	v_fma_f32 v13, v13, 2.0, -v49
	v_fmac_f32_e32 v24, 0x3f3504f3, v16
	v_sub_f32_e32 v7, v4, v15
	v_fmac_f32_e32 v8, 0x3ec3ef15, v33
	v_fma_f32 v16, v34, 2.0, -v46
	v_add_f32_e32 v50, v17, v45
	v_fma_f32 v3, v4, 2.0, -v7
	v_fma_f32 v4, v10, 2.0, -v8
	v_sub_f32_e32 v51, v18, v38
	v_fma_f32 v52, v17, 2.0, -v50
	v_fma_f32 v36, v9, 2.0, -v24
	v_mov_b32_e32 v9, v13
	v_mov_b32_e32 v10, v16
	v_fma_f32 v37, v37, 2.0, -v29
	v_fmac_f32_e32 v9, 0xbf3504f3, v52
	v_fma_f32 v53, v18, 2.0, -v51
	v_fmac_f32_e32 v10, 0xbec3ef15, v36
	v_fmac_f32_e32 v9, 0x3f3504f3, v53
	;; [unrolled: 1-line block ×3, first 2 shown]
	v_fma_f32 v15, v13, 2.0, -v9
	v_fma_f32 v16, v16, 2.0, -v10
	v_lshl_add_u32 v34, v40, 6, 0
	ds_write2_b64 v34, v[3:4], v[15:16] offset1:1
	v_fma_f32 v38, v22, 2.0, -v18
	v_fma_f32 v3, v43, 2.0, -v45
	v_sub_f32_e32 v47, v38, v3
	v_mov_b32_e32 v16, v48
	v_mov_b32_e32 v3, v49
	;; [unrolled: 1-line block ×3, first 2 shown]
	v_fmac_f32_e32 v16, 0x3ec3ef15, v19
	v_fmac_f32_e32 v3, 0x3f3504f3, v50
	;; [unrolled: 1-line block ×3, first 2 shown]
	v_add_f32_e32 v15, v25, v47
	v_fmac_f32_e32 v16, 0x3f6c835e, v23
	v_fmac_f32_e32 v3, 0x3f3504f3, v51
	;; [unrolled: 1-line block ×3, first 2 shown]
	v_fma_f32 v17, v25, 2.0, -v15
	v_fma_f32 v18, v48, 2.0, -v16
	;; [unrolled: 1-line block ×4, first 2 shown]
	s_movk_i32 s0, 0xffc4
	ds_write2_b64 v34, v[17:18], v[21:22] offset0:2 offset1:3
	ds_write2_b64 v34, v[7:8], v[9:10] offset0:4 offset1:5
	;; [unrolled: 1-line block ×3, first 2 shown]
	v_mad_i32_i24 v3, v40, s0, v34
	v_lshl_add_u32 v43, v42, 2, 0
	v_add_u32_e32 v17, 0x400, v3
	v_add_u32_e32 v25, 0xc00, v3
	v_mul_f32_e32 v57, 0x3f3504f3, v28
	v_mul_f32_e32 v58, 0x3f3504f3, v44
	;; [unrolled: 1-line block ×4, first 2 shown]
	s_waitcnt lgkmcnt(0)
	s_barrier
	v_add_u32_e32 v9, 0x800, v3
	v_add_u32_e32 v10, 0xa00, v3
	;; [unrolled: 1-line block ×3, first 2 shown]
	v_lshl_add_u32 v44, v41, 2, 0
	ds_read_b32 v49, v43
	ds_read_b32 v48, v44
	ds_read_b32 v55, v3 offset:4736
	ds_read2st64_b32 v[7:8], v3 offset1:4
	ds_read2_b32 v[21:22], v9 offset1:80
	ds_read2_b32 v[15:16], v10 offset0:32 offset1:128
	ds_read2_b32 v[27:28], v13 offset1:80
	ds_read2_b32 v[17:18], v17 offset0:80 offset1:160
	ds_read2_b32 v[25:26], v25 offset0:80 offset1:160
	v_mul_i32_i24_e32 v3, 0xffffffc4, v40
	v_mul_f32_e32 v52, 0x3f3504f3, v52
	v_mul_f32_e32 v53, 0x3f3504f3, v53
	;; [unrolled: 1-line block ×4, first 2 shown]
	v_cmp_gt_u32_e64 s[0:1], 16, v40
	v_add_u32_e32 v45, v34, v3
	v_lshl_add_u32 v46, v12, 2, 0
                                        ; implicit-def: $vgpr10
                                        ; implicit-def: $vgpr13
	s_and_saveexec_b64 s[4:5], s[0:1]
	s_cbranch_execz .LBB0_15
; %bb.14:
	v_add_u32_e32 v3, 0xc0, v45
	ds_read_b32 v4, v46
	ds_read2st64_b32 v[12:13], v3 offset0:7 offset1:11
	ds_read2st64_b32 v[9:10], v3 offset0:15 offset1:19
.LBB0_15:
	s_or_b64 exec, exec, s[4:5]
	v_sub_f32_e32 v3, v5, v11
	v_fma_f32 v5, v5, 2.0, -v3
	v_fma_f32 v11, v14, 2.0, -v32
	v_sub_f32_e32 v11, v5, v11
	v_fma_f32 v5, v5, 2.0, -v11
	v_sub_f32_e32 v14, v3, v31
	v_fma_f32 v6, v35, 2.0, -v6
	v_fma_f32 v3, v3, 2.0, -v14
	v_sub_f32_e32 v59, v5, v6
	v_fma_f32 v6, v5, 2.0, -v59
	v_sub_f32_e32 v5, v3, v58
	v_sub_f32_e32 v57, v5, v57
	;; [unrolled: 1-line block ×3, first 2 shown]
	v_add_f32_e32 v5, v14, v56
	v_fma_f32 v2, v11, 2.0, -v58
	v_sub_f32_e32 v11, v5, v54
	v_fma_f32 v5, v38, 2.0, -v47
	v_fma_f32 v3, v3, 2.0, -v57
	v_sub_f32_e32 v5, v6, v5
	v_fma_f32 v31, v6, 2.0, -v5
	v_mov_b32_e32 v6, v3
	v_fmac_f32_e32 v6, 0xbf6c835e, v33
	v_fma_f32 v14, v14, 2.0, -v11
	v_fmac_f32_e32 v6, 0xbec3ef15, v30
	v_fma_f32 v32, v3, 2.0, -v6
	v_sub_f32_e32 v3, v2, v53
	v_mov_b32_e32 v53, v14
	v_sub_f32_e32 v52, v3, v52
	v_fmac_f32_e32 v53, 0xbec3ef15, v37
	v_mov_b32_e32 v38, v57
	v_mov_b32_e32 v3, v11
	v_fma_f32 v35, v2, 2.0, -v52
	v_fmac_f32_e32 v53, 0xbf6c835e, v36
	v_fmac_f32_e32 v38, 0x3ec3ef15, v23
	v_add_f32_e32 v2, v58, v51
	v_fmac_f32_e32 v3, 0x3f6c835e, v29
	v_fma_f32 v36, v14, 2.0, -v53
	v_sub_f32_e32 v37, v59, v20
	v_fmac_f32_e32 v38, 0xbf6c835e, v19
	v_sub_f32_e32 v2, v2, v50
	v_fmac_f32_e32 v3, 0xbec3ef15, v24
	v_fma_f32 v56, v59, 2.0, -v37
	v_fma_f32 v57, v57, 2.0, -v38
	;; [unrolled: 1-line block ×4, first 2 shown]
	s_waitcnt lgkmcnt(0)
	s_barrier
	ds_write2_b64 v34, v[31:32], v[35:36] offset1:1
	ds_write2_b64 v34, v[56:57], v[19:20] offset0:2 offset1:3
	ds_write2_b64 v34, v[5:6], v[52:53] offset0:4 offset1:5
	;; [unrolled: 1-line block ×3, first 2 shown]
	v_add_u32_e32 v2, 0x800, v45
	s_waitcnt lgkmcnt(0)
	s_barrier
	ds_read2_b32 v[33:34], v2 offset1:80
	v_add_u32_e32 v2, 0xa00, v45
	ds_read2_b32 v[29:30], v2 offset0:32 offset1:128
	v_add_u32_e32 v2, 0x1000, v45
	ds_read2_b32 v[37:38], v2 offset1:80
	v_add_u32_e32 v2, 0x400, v45
	ds_read2_b32 v[31:32], v2 offset0:80 offset1:160
	v_add_u32_e32 v2, 0xc00, v45
	ds_read2st64_b32 v[5:6], v45 offset1:4
	ds_read2_b32 v[35:36], v2 offset0:80 offset1:160
	ds_read_b32 v47, v43
	ds_read_b32 v2, v44
	ds_read_b32 v56, v45 offset:4736
                                        ; implicit-def: $vgpr20
                                        ; implicit-def: $vgpr24
	s_and_saveexec_b64 s[4:5], s[0:1]
	s_cbranch_execz .LBB0_17
; %bb.16:
	v_add_u32_e32 v11, 0xc0, v45
	ds_read_b32 v3, v46
	ds_read2st64_b32 v[23:24], v11 offset0:7 offset1:11
	ds_read2st64_b32 v[19:20], v11 offset0:15 offset1:19
.LBB0_17:
	s_or_b64 exec, exec, s[4:5]
	v_and_b32_e32 v73, 15, v40
	v_lshlrev_b32_e32 v11, 5, v73
	global_load_dwordx4 v[57:60], v11, s[8:9]
	global_load_dwordx4 v[61:64], v11, s[8:9] offset:16
	v_lshlrev_b32_e32 v11, 5, v40
	v_and_b32_e32 v11, 0x1e0, v11
	global_load_dwordx4 v[65:68], v11, s[8:9]
	global_load_dwordx4 v[69:72], v11, s[8:9] offset:16
	s_movk_i32 s4, 0x50
	v_lshrrev_b32_e32 v42, 4, v42
	v_mul_lo_u32 v42, v42, s4
	s_waitcnt vmcnt(0) lgkmcnt(0)
	s_barrier
	v_mul_f32_e32 v74, v8, v58
	v_mul_f32_e32 v11, v27, v64
	;; [unrolled: 1-line block ×6, first 2 shown]
	v_fma_f32 v37, v37, v63, -v11
	v_mul_f32_e32 v11, v25, v62
	v_fmac_f32_e32 v51, v25, v61
	v_mul_f32_e32 v25, v26, v62
	v_fmac_f32_e32 v53, v27, v63
	v_fmac_f32_e32 v50, v28, v63
	v_fma_f32 v27, v38, v63, -v14
	v_mul_f32_e32 v14, v36, v62
	v_fma_f32 v28, v35, v61, -v11
	v_fma_f32 v11, v36, v61, -v25
	v_mul_f32_e32 v25, v55, v64
	v_mul_f32_e32 v35, v16, v62
	v_fmac_f32_e32 v14, v26, v61
	v_mul_f32_e32 v54, v30, v62
	v_mul_f32_e32 v26, v56, v64
	v_fma_f32 v25, v56, v63, -v25
	v_fma_f32 v38, v30, v61, -v35
	v_mul_f32_e32 v56, v33, v60
	v_mul_f32_e32 v35, v34, v60
	v_fmac_f32_e32 v54, v16, v61
	v_mul_f32_e32 v16, v21, v60
	v_mul_f32_e32 v36, v31, v58
	v_fmac_f32_e32 v56, v21, v59
	v_fmac_f32_e32 v35, v22, v59
	v_mul_f32_e32 v21, v22, v60
	v_mul_f32_e32 v22, v17, v58
	v_fmac_f32_e32 v26, v55, v63
	v_fma_f32 v55, v33, v59, -v16
	v_fma_f32 v33, v34, v59, -v21
	v_fmac_f32_e32 v36, v17, v57
	v_mul_f32_e32 v17, v29, v60
	v_mul_f32_e32 v34, v15, v60
	v_fma_f32 v31, v31, v57, -v22
	v_mul_f32_e32 v22, v19, v70
	v_fmac_f32_e32 v17, v15, v59
	v_fma_f32 v15, v29, v59, -v34
	v_mul_f32_e32 v34, v9, v70
	v_fmac_f32_e32 v22, v9, v69
	v_add_f32_e32 v9, v56, v54
	v_mul_f32_e32 v52, v6, v58
	v_mul_f32_e32 v30, v32, v58
	;; [unrolled: 1-line block ×3, first 2 shown]
	v_fma_f32 v6, v6, v57, -v74
	v_mul_f32_e32 v29, v20, v72
	v_fma_f32 v9, -0.5, v9, v7
	v_fmac_f32_e32 v30, v18, v57
	v_fma_f32 v16, v32, v57, -v16
	v_mul_f32_e32 v18, v23, v66
	v_mul_f32_e32 v32, v12, v66
	;; [unrolled: 1-line block ×3, first 2 shown]
	v_fmac_f32_e32 v52, v8, v57
	v_mul_f32_e32 v8, v10, v72
	v_fma_f32 v19, v19, v69, -v34
	v_fmac_f32_e32 v29, v10, v71
	v_sub_f32_e32 v10, v6, v37
	v_mov_b32_e32 v34, v9
	v_mul_f32_e32 v58, v13, v68
	v_fmac_f32_e32 v18, v12, v65
	v_fma_f32 v23, v23, v65, -v32
	v_fmac_f32_e32 v21, v13, v67
	v_sub_f32_e32 v12, v55, v38
	v_sub_f32_e32 v13, v52, v56
	;; [unrolled: 1-line block ×3, first 2 shown]
	v_fmac_f32_e32 v9, 0x3f737871, v10
	v_fmac_f32_e32 v34, 0xbf737871, v10
	v_add_f32_e32 v13, v13, v32
	v_fmac_f32_e32 v9, 0x3f167918, v12
	v_fmac_f32_e32 v34, 0xbf167918, v12
	;; [unrolled: 1-line block ×4, first 2 shown]
	v_add_f32_e32 v13, v52, v53
	v_fma_f32 v20, v20, v71, -v8
	v_add_f32_e32 v8, v7, v52
	v_fmac_f32_e32 v7, -0.5, v13
	v_mov_b32_e32 v13, v7
	v_fmac_f32_e32 v13, 0x3f737871, v12
	v_sub_f32_e32 v32, v56, v52
	v_sub_f32_e32 v57, v54, v53
	v_fmac_f32_e32 v7, 0xbf737871, v12
	v_add_f32_e32 v12, v35, v51
	v_fmac_f32_e32 v13, 0xbf167918, v10
	v_add_f32_e32 v32, v32, v57
	v_fmac_f32_e32 v7, 0x3f167918, v10
	v_fma_f32 v12, -0.5, v12, v49
	v_fmac_f32_e32 v13, 0x3e9e377a, v32
	v_fmac_f32_e32 v7, 0x3e9e377a, v32
	v_sub_f32_e32 v32, v31, v27
	v_mov_b32_e32 v57, v12
	v_fma_f32 v24, v24, v67, -v58
	v_fmac_f32_e32 v57, 0xbf737871, v32
	v_sub_f32_e32 v58, v33, v28
	v_sub_f32_e32 v59, v36, v35
	;; [unrolled: 1-line block ×3, first 2 shown]
	v_fmac_f32_e32 v12, 0x3f737871, v32
	v_fmac_f32_e32 v57, 0xbf167918, v58
	v_add_f32_e32 v59, v59, v60
	v_fmac_f32_e32 v12, 0x3f167918, v58
	v_fmac_f32_e32 v57, 0x3e9e377a, v59
	;; [unrolled: 1-line block ×3, first 2 shown]
	v_add_f32_e32 v59, v36, v50
	v_add_f32_e32 v10, v49, v36
	v_fmac_f32_e32 v49, -0.5, v59
	v_mov_b32_e32 v59, v49
	v_fmac_f32_e32 v59, 0x3f737871, v58
	v_fmac_f32_e32 v49, 0xbf737871, v58
	;; [unrolled: 1-line block ×4, first 2 shown]
	v_add_f32_e32 v32, v48, v30
	v_add_f32_e32 v32, v32, v17
	v_sub_f32_e32 v60, v35, v36
	v_sub_f32_e32 v61, v51, v50
	v_add_f32_e32 v32, v32, v14
	v_add_f32_e32 v60, v60, v61
	v_add_f32_e32 v58, v32, v26
	v_add_f32_e32 v32, v17, v14
	v_fmac_f32_e32 v59, 0x3e9e377a, v60
	v_fmac_f32_e32 v49, 0x3e9e377a, v60
	v_fma_f32 v60, -0.5, v32, v48
	v_sub_f32_e32 v32, v16, v25
	v_mov_b32_e32 v61, v60
	v_fmac_f32_e32 v61, 0xbf737871, v32
	v_sub_f32_e32 v62, v15, v11
	v_sub_f32_e32 v63, v30, v17
	;; [unrolled: 1-line block ×3, first 2 shown]
	v_fmac_f32_e32 v60, 0x3f737871, v32
	v_fmac_f32_e32 v61, 0xbf167918, v62
	v_add_f32_e32 v63, v63, v64
	v_fmac_f32_e32 v60, 0x3f167918, v62
	v_fmac_f32_e32 v61, 0x3e9e377a, v63
	;; [unrolled: 1-line block ×3, first 2 shown]
	v_add_f32_e32 v63, v30, v26
	v_fmac_f32_e32 v48, -0.5, v63
	v_mov_b32_e32 v63, v48
	v_fmac_f32_e32 v63, 0x3f737871, v62
	v_fmac_f32_e32 v48, 0xbf737871, v62
	;; [unrolled: 1-line block ×4, first 2 shown]
	v_lshrrev_b32_e32 v32, 4, v40
	v_add_f32_e32 v8, v8, v56
	v_mul_u32_u24_e32 v32, 0x50, v32
	v_add_f32_e32 v8, v8, v54
	v_or_b32_e32 v32, v32, v73
	v_add_f32_e32 v8, v8, v53
	v_lshl_add_u32 v32, v32, 2, 0
	ds_write2_b32 v32, v8, v34 offset1:16
	ds_write2_b32 v32, v13, v7 offset0:32 offset1:48
	ds_write_b32 v32, v9 offset:256
	v_or_b32_e32 v7, v42, v73
	v_lshl_add_u32 v42, v7, 2, 0
	v_lshrrev_b32_e32 v7, 4, v41
	v_mul_lo_u32 v7, v7, s4
	v_add_f32_e32 v10, v10, v35
	v_add_f32_e32 v10, v10, v51
	v_sub_f32_e32 v64, v17, v30
	v_sub_f32_e32 v65, v14, v26
	v_or_b32_e32 v7, v7, v73
	v_add_f32_e32 v10, v10, v50
	v_add_f32_e32 v64, v64, v65
	v_lshl_add_u32 v41, v7, 2, 0
	v_lshl_add_u32 v34, v40, 2, 0
	v_fmac_f32_e32 v63, 0x3e9e377a, v64
	v_fmac_f32_e32 v48, 0x3e9e377a, v64
	ds_write2_b32 v42, v10, v57 offset1:16
	ds_write2_b32 v42, v59, v49 offset0:32 offset1:48
	ds_write_b32 v42, v12 offset:256
	ds_write2_b32 v41, v58, v61 offset1:16
	ds_write2_b32 v41, v63, v48 offset0:32 offset1:48
	ds_write_b32 v41, v60 offset:256
	s_and_saveexec_b64 s[4:5], s[0:1]
	s_cbranch_execz .LBB0_19
; %bb.18:
	v_add_f32_e32 v9, v18, v29
	v_fma_f32 v9, -0.5, v9, v4
	v_sub_f32_e32 v7, v21, v18
	v_sub_f32_e32 v8, v22, v29
	;; [unrolled: 1-line block ×3, first 2 shown]
	v_mov_b32_e32 v12, v9
	v_add_f32_e32 v7, v7, v8
	v_sub_f32_e32 v8, v23, v20
	v_fmac_f32_e32 v12, 0xbf737871, v10
	v_fmac_f32_e32 v9, 0x3f737871, v10
	;; [unrolled: 1-line block ×6, first 2 shown]
	v_sub_f32_e32 v7, v18, v21
	v_sub_f32_e32 v13, v29, v22
	v_add_f32_e32 v7, v7, v13
	v_add_f32_e32 v13, v21, v22
	v_fma_f32 v13, -0.5, v13, v4
	v_mov_b32_e32 v48, v13
	v_add_f32_e32 v4, v4, v18
	v_fmac_f32_e32 v48, 0x3f737871, v8
	v_fmac_f32_e32 v13, 0xbf737871, v8
	v_add_f32_e32 v4, v4, v21
	v_fmac_f32_e32 v48, 0x3f167918, v10
	v_fmac_f32_e32 v13, 0xbf167918, v10
	;; [unrolled: 3-line block ×3, first 2 shown]
	v_add_f32_e32 v4, v4, v29
	v_add_u32_e32 v7, 0x1000, v34
	ds_write2_b32 v7, v4, v13 offset0:176 offset1:192
	ds_write2_b32 v7, v9, v12 offset0:208 offset1:224
	ds_write_b32 v34, v48 offset:5056
.LBB0_19:
	s_or_b64 exec, exec, s[4:5]
	v_add_f32_e32 v4, v5, v6
	v_add_f32_e32 v4, v4, v55
	v_add_f32_e32 v4, v4, v38
	v_add_f32_e32 v48, v4, v37
	v_add_f32_e32 v4, v55, v38
	v_fma_f32 v49, -0.5, v4, v5
	v_sub_f32_e32 v4, v52, v53
	v_mov_b32_e32 v52, v49
	v_fmac_f32_e32 v52, 0x3f737871, v4
	v_sub_f32_e32 v7, v56, v54
	v_sub_f32_e32 v8, v6, v55
	v_sub_f32_e32 v9, v37, v38
	v_fmac_f32_e32 v49, 0xbf737871, v4
	v_fmac_f32_e32 v52, 0x3f167918, v7
	v_add_f32_e32 v8, v8, v9
	v_fmac_f32_e32 v49, 0xbf167918, v7
	v_fmac_f32_e32 v52, 0x3e9e377a, v8
	;; [unrolled: 1-line block ×3, first 2 shown]
	v_add_f32_e32 v8, v6, v37
	v_fmac_f32_e32 v5, -0.5, v8
	v_mov_b32_e32 v53, v5
	v_fmac_f32_e32 v53, 0xbf737871, v7
	v_fmac_f32_e32 v5, 0x3f737871, v7
	;; [unrolled: 1-line block ×4, first 2 shown]
	v_add_f32_e32 v4, v47, v31
	v_add_f32_e32 v4, v4, v33
	;; [unrolled: 1-line block ×3, first 2 shown]
	v_sub_f32_e32 v8, v38, v37
	v_add_f32_e32 v37, v4, v27
	v_add_f32_e32 v4, v33, v28
	v_sub_f32_e32 v6, v55, v6
	v_fma_f32 v38, -0.5, v4, v47
	v_add_f32_e32 v6, v6, v8
	v_sub_f32_e32 v4, v36, v50
	v_mov_b32_e32 v36, v38
	v_fmac_f32_e32 v53, 0x3e9e377a, v6
	v_fmac_f32_e32 v5, 0x3e9e377a, v6
	;; [unrolled: 1-line block ×3, first 2 shown]
	v_sub_f32_e32 v6, v35, v51
	v_sub_f32_e32 v7, v31, v33
	;; [unrolled: 1-line block ×3, first 2 shown]
	v_fmac_f32_e32 v38, 0xbf737871, v4
	v_fmac_f32_e32 v36, 0x3f167918, v6
	v_add_f32_e32 v7, v7, v8
	v_fmac_f32_e32 v38, 0xbf167918, v6
	v_fmac_f32_e32 v36, 0x3e9e377a, v7
	;; [unrolled: 1-line block ×3, first 2 shown]
	v_add_f32_e32 v7, v31, v27
	v_fmac_f32_e32 v47, -0.5, v7
	v_mov_b32_e32 v35, v47
	v_fmac_f32_e32 v35, 0xbf737871, v6
	v_fmac_f32_e32 v47, 0x3f737871, v6
	;; [unrolled: 1-line block ×4, first 2 shown]
	v_add_f32_e32 v4, v2, v16
	v_add_f32_e32 v4, v4, v15
	;; [unrolled: 1-line block ×3, first 2 shown]
	v_sub_f32_e32 v8, v28, v27
	v_add_f32_e32 v28, v4, v25
	v_add_f32_e32 v4, v15, v11
	v_sub_f32_e32 v7, v33, v31
	v_fma_f32 v31, -0.5, v4, v2
	v_add_f32_e32 v7, v7, v8
	v_sub_f32_e32 v4, v30, v26
	v_mov_b32_e32 v30, v31
	v_fmac_f32_e32 v35, 0x3e9e377a, v7
	v_fmac_f32_e32 v47, 0x3e9e377a, v7
	;; [unrolled: 1-line block ×3, first 2 shown]
	v_sub_f32_e32 v6, v17, v14
	v_sub_f32_e32 v7, v16, v15
	;; [unrolled: 1-line block ×3, first 2 shown]
	v_fmac_f32_e32 v31, 0xbf737871, v4
	v_fmac_f32_e32 v30, 0x3f167918, v6
	v_add_f32_e32 v7, v7, v8
	v_fmac_f32_e32 v31, 0xbf167918, v6
	v_fmac_f32_e32 v30, 0x3e9e377a, v7
	;; [unrolled: 1-line block ×3, first 2 shown]
	v_add_f32_e32 v7, v16, v25
	v_fmac_f32_e32 v2, -0.5, v7
	v_mov_b32_e32 v33, v2
	v_fmac_f32_e32 v33, 0xbf737871, v6
	v_sub_f32_e32 v7, v15, v16
	v_sub_f32_e32 v8, v11, v25
	v_fmac_f32_e32 v2, 0x3f737871, v6
	v_fmac_f32_e32 v33, 0x3f167918, v4
	v_add_f32_e32 v7, v7, v8
	v_fmac_f32_e32 v2, 0xbf167918, v4
	v_add_u32_e32 v8, 0x400, v45
	v_add_u32_e32 v10, 0xa00, v45
	v_fmac_f32_e32 v33, 0x3e9e377a, v7
	v_fmac_f32_e32 v2, 0x3e9e377a, v7
	s_waitcnt lgkmcnt(0)
	s_barrier
	ds_read2st64_b32 v[6:7], v45 offset1:5
	ds_read_b32 v4, v43
	ds_read_b32 v26, v44
	ds_read2_b32 v[16:17], v8 offset0:144 offset1:224
	v_add_u32_e32 v8, 0x800, v45
	ds_read2_b32 v[12:13], v10 offset0:80 offset1:160
	v_add_u32_e32 v10, 0xc00, v45
	v_add_u32_e32 v14, 0x1000, v45
	ds_read2_b32 v[8:9], v8 offset0:48 offset1:128
	ds_read2_b32 v[10:11], v10 offset0:112 offset1:192
	;; [unrolled: 1-line block ×3, first 2 shown]
	ds_read_b32 v25, v46
	ds_read_b32 v27, v45 offset:4800
	s_waitcnt lgkmcnt(0)
	s_barrier
	ds_write2_b32 v32, v48, v52 offset1:16
	ds_write2_b32 v32, v53, v5 offset0:32 offset1:48
	ds_write_b32 v32, v49 offset:256
	ds_write2_b32 v42, v37, v36 offset1:16
	ds_write2_b32 v42, v35, v47 offset0:32 offset1:48
	ds_write_b32 v42, v38 offset:256
	;; [unrolled: 3-line block ×3, first 2 shown]
	s_and_saveexec_b64 s[4:5], s[0:1]
	s_cbranch_execz .LBB0_21
; %bb.20:
	v_add_f32_e32 v5, v24, v19
	v_fma_f32 v5, -0.5, v5, v3
	v_sub_f32_e32 v18, v18, v29
	v_mov_b32_e32 v28, v5
	v_fmac_f32_e32 v28, 0x3f737871, v18
	v_sub_f32_e32 v21, v21, v22
	v_sub_f32_e32 v22, v23, v24
	;; [unrolled: 1-line block ×3, first 2 shown]
	v_fmac_f32_e32 v5, 0xbf737871, v18
	v_fmac_f32_e32 v28, 0x3f167918, v21
	v_add_f32_e32 v22, v22, v29
	v_fmac_f32_e32 v5, 0xbf167918, v21
	v_fmac_f32_e32 v28, 0x3e9e377a, v22
	;; [unrolled: 1-line block ×3, first 2 shown]
	v_add_f32_e32 v22, v23, v20
	v_add_f32_e32 v2, v3, v23
	v_fmac_f32_e32 v3, -0.5, v22
	v_add_f32_e32 v2, v2, v24
	v_mov_b32_e32 v22, v3
	v_add_f32_e32 v2, v2, v19
	v_fmac_f32_e32 v22, 0xbf737871, v21
	v_sub_f32_e32 v23, v24, v23
	v_sub_f32_e32 v19, v19, v20
	v_fmac_f32_e32 v3, 0x3f737871, v21
	v_add_f32_e32 v2, v2, v20
	v_fmac_f32_e32 v22, 0x3f167918, v18
	v_add_f32_e32 v19, v23, v19
	v_fmac_f32_e32 v3, 0xbf167918, v18
	v_add_u32_e32 v18, 0x1000, v34
	v_fmac_f32_e32 v22, 0x3e9e377a, v19
	v_fmac_f32_e32 v3, 0x3e9e377a, v19
	ds_write2_b32 v18, v2, v28 offset0:176 offset1:192
	ds_write2_b32 v18, v22, v3 offset0:208 offset1:224
	ds_write_b32 v34, v5 offset:5056
.LBB0_21:
	s_or_b64 exec, exec, s[4:5]
	s_waitcnt lgkmcnt(0)
	s_barrier
	s_and_saveexec_b64 s[0:1], vcc
	s_cbranch_execz .LBB0_23
; %bb.22:
	v_mul_u32_u24_e32 v2, 15, v40
	v_lshlrev_b32_e32 v5, 3, v2
	global_load_dwordx4 v[18:21], v5, s[8:9] offset:512
	global_load_dwordx4 v[28:31], v5, s[8:9] offset:576
	;; [unrolled: 1-line block ×7, first 2 shown]
	global_load_dwordx2 v[2:3], v5, s[8:9] offset:624
	v_add_u32_e32 v63, 0x800, v45
	v_add_u32_e32 v64, 0xc00, v45
	;; [unrolled: 1-line block ×5, first 2 shown]
	ds_read2st64_b32 v[22:23], v45 offset1:5
	ds_read_b32 v46, v46
	ds_read_b32 v65, v45 offset:4800
	ds_read_b32 v66, v44
	ds_read_b32 v67, v43
	ds_read2_b32 v[36:37], v5 offset0:80 offset1:160
	ds_read2_b32 v[40:41], v24 offset0:144 offset1:224
	;; [unrolled: 1-line block ×5, first 2 shown]
	s_waitcnt vmcnt(7)
	v_mul_f32_e32 v5, v26, v21
	s_waitcnt lgkmcnt(6)
	v_mul_f32_e32 v21, v66, v21
	v_fma_f32 v66, v66, v20, -v5
	s_waitcnt vmcnt(6)
	v_mul_f32_e32 v24, v13, v31
	s_waitcnt vmcnt(3)
	v_mul_f32_e32 v5, v8, v52
	s_waitcnt lgkmcnt(4)
	v_mul_f32_e32 v31, v37, v31
	s_waitcnt vmcnt(2)
	v_mul_f32_e32 v72, v25, v56
	s_waitcnt vmcnt(0)
	v_mul_f32_e32 v75, v27, v2
	v_mul_f32_e32 v27, v27, v3
	v_fmac_f32_e32 v75, v65, v3
	v_fma_f32 v2, v65, v2, -v27
	v_mul_f32_e32 v3, v4, v19
	v_mul_f32_e32 v27, v12, v29
	v_fmac_f32_e32 v21, v26, v20
	v_fma_f32 v26, v67, v18, -v3
	v_fma_f32 v3, v36, v28, -v27
	s_waitcnt lgkmcnt(1)
	v_fma_f32 v27, v44, v51, -v5
	v_mul_f32_e32 v74, v8, v51
	v_fmac_f32_e32 v31, v13, v30
	v_fma_f32 v13, v46, v55, -v72
	v_sub_f32_e32 v51, v27, v2
	v_mul_f32_e32 v46, v46, v56
	s_waitcnt lgkmcnt(0)
	v_mul_f32_e32 v2, v63, v60
	v_fmac_f32_e32 v46, v25, v55
	v_fmac_f32_e32 v2, v10, v59
	v_mul_f32_e32 v73, v10, v60
	v_mul_f32_e32 v65, v16, v32
	v_mul_f32_e32 v16, v16, v33
	v_sub_f32_e32 v10, v46, v2
	v_mul_f32_e32 v2, v14, v48
	v_fma_f32 v16, v40, v32, -v16
	v_fma_f32 v2, v42, v47, -v2
	v_sub_f32_e32 v25, v16, v2
	v_mul_f32_e32 v19, v67, v19
	v_mul_f32_e32 v2, v36, v29
	v_fmac_f32_e32 v19, v4, v18
	v_fmac_f32_e32 v2, v12, v28
	v_mul_f32_e32 v69, v9, v54
	v_mul_f32_e32 v70, v7, v57
	;; [unrolled: 1-line block ×3, first 2 shown]
	v_sub_f32_e32 v12, v19, v2
	v_mul_f32_e32 v2, v7, v58
	v_mul_f32_e32 v38, v17, v34
	;; [unrolled: 1-line block ×4, first 2 shown]
	v_fma_f32 v8, v37, v30, -v24
	v_fma_f32 v24, v45, v53, -v69
	v_fmac_f32_e32 v70, v23, v58
	v_fmac_f32_e32 v71, v64, v62
	v_fma_f32 v7, v23, v57, -v2
	v_mul_f32_e32 v2, v11, v62
	v_mul_f32_e32 v17, v17, v35
	;; [unrolled: 1-line block ×3, first 2 shown]
	v_fmac_f32_e32 v38, v41, v35
	v_fmac_f32_e32 v68, v43, v50
	;; [unrolled: 1-line block ×4, first 2 shown]
	v_sub_f32_e32 v24, v22, v24
	v_sub_f32_e32 v32, v70, v71
	v_fma_f32 v2, v64, v61, -v2
	v_fma_f32 v17, v41, v34, -v17
	v_fma_f32 v15, v43, v49, -v15
	v_fma_f32 v20, v63, v59, -v73
	v_fmac_f32_e32 v74, v44, v52
	v_sub_f32_e32 v30, v66, v8
	v_sub_f32_e32 v8, v38, v68
	;; [unrolled: 1-line block ×12, first 2 shown]
	v_mov_b32_e32 v49, v40
	v_mul_f32_e32 v2, v45, v54
	v_fma_f32 v22, v22, 2.0, -v24
	v_fma_f32 v7, v7, 2.0, -v11
	v_add_f32_e32 v41, v31, v15
	v_sub_f32_e32 v43, v20, v33
	v_mov_b32_e32 v50, v44
	v_fmac_f32_e32 v49, 0x3f3504f3, v37
	v_add_f32_e32 v18, v12, v25
	v_fmac_f32_e32 v2, v9, v53
	v_sub_f32_e32 v42, v22, v7
	v_fma_f32 v7, v38, 2.0, -v8
	v_fma_f32 v47, v13, 2.0, -v20
	;; [unrolled: 1-line block ×3, first 2 shown]
	v_fmac_f32_e32 v50, 0x3f3504f3, v43
	v_fmac_f32_e32 v49, 0xbf3504f3, v41
	v_add_f32_e32 v14, v10, v51
	v_mov_b32_e32 v28, v18
	v_sub_f32_e32 v23, v6, v2
	v_fma_f32 v21, v21, 2.0, -v31
	v_sub_f32_e32 v27, v47, v8
	v_fma_f32 v19, v19, 2.0, -v12
	v_fma_f32 v8, v65, 2.0, -v35
	v_fmac_f32_e32 v50, 0xbf3504f3, v14
	v_fmac_f32_e32 v28, 0x3f3504f3, v14
	v_add_f32_e32 v29, v23, v11
	v_sub_f32_e32 v38, v21, v7
	v_fma_f32 v26, v26, 2.0, -v34
	v_fma_f32 v7, v16, 2.0, -v25
	v_sub_f32_e32 v35, v19, v8
	v_fma_f32 v51, v66, 2.0, -v30
	v_fma_f32 v8, v17, 2.0, -v15
	;; [unrolled: 1-line block ×4, first 2 shown]
	v_fmac_f32_e32 v28, 0x3f3504f3, v43
	v_mov_b32_e32 v36, v29
	v_sub_f32_e32 v25, v26, v7
	v_fma_f32 v16, v46, 2.0, -v10
	v_fma_f32 v7, v74, 2.0, -v33
	v_sub_f32_e32 v15, v51, v8
	v_fma_f32 v56, v22, 2.0, -v42
	v_fma_f32 v57, v19, 2.0, -v35
	;; [unrolled: 1-line block ×3, first 2 shown]
	v_mov_b32_e32 v19, v20
	v_fmac_f32_e32 v36, 0x3f3504f3, v41
	v_sub_f32_e32 v33, v16, v7
	v_fma_f32 v52, v6, 2.0, -v23
	v_fma_f32 v10, v10, 2.0, -v14
	;; [unrolled: 1-line block ×4, first 2 shown]
	v_fmac_f32_e32 v19, 0xbec3ef15, v22
	v_fma_f32 v23, v18, 2.0, -v28
	v_fmac_f32_e32 v36, 0x3f3504f3, v37
	v_sub_f32_e32 v51, v56, v14
	v_fma_f32 v14, v16, 2.0, -v33
	v_fmac_f32_e32 v19, 0xbf6c835e, v23
	v_sub_f32_e32 v58, v57, v14
	v_fma_f32 v14, v21, 2.0, -v38
	v_fma_f32 v21, v20, 2.0, -v19
	;; [unrolled: 1-line block ×6, first 2 shown]
	v_mov_b32_e32 v18, v20
	v_sub_f32_e32 v45, v42, v38
	v_mov_b32_e32 v30, v54
	v_fmac_f32_e32 v18, 0xbec3ef15, v23
	v_sub_f32_e32 v46, v25, v33
	v_fma_f32 v6, v70, 2.0, -v32
	v_fmac_f32_e32 v30, 0xbf3504f3, v17
	v_fma_f32 v24, v31, 2.0, -v41
	v_mov_b32_e32 v55, v43
	v_fmac_f32_e32 v18, 0x3f6c835e, v22
	v_fma_f32 v22, v42, 2.0, -v45
	v_add_f32_e32 v48, v27, v35
	v_sub_f32_e32 v32, v52, v6
	v_fmac_f32_e32 v30, 0xbf3504f3, v24
	v_fmac_f32_e32 v55, 0xbf3504f3, v24
	v_fma_f32 v24, v25, 2.0, -v46
	v_mov_b32_e32 v23, v22
	v_add_f32_e32 v53, v15, v32
	v_fma_f32 v31, v34, 2.0, -v44
	v_fma_f32 v52, v52, 2.0, -v32
	;; [unrolled: 1-line block ×3, first 2 shown]
	v_fmac_f32_e32 v23, 0xbf3504f3, v24
	v_fma_f32 v26, v35, 2.0, -v48
	v_mov_b32_e32 v34, v31
	v_sub_f32_e32 v38, v52, v14
	v_fma_f32 v14, v47, 2.0, -v27
	v_fmac_f32_e32 v23, 0xbf3504f3, v26
	v_fma_f32 v27, v32, 2.0, -v53
	v_fmac_f32_e32 v34, 0xbf3504f3, v13
	v_mov_b32_e32 v41, v37
	v_fma_f32 v25, v22, 2.0, -v23
	v_mov_b32_e32 v22, v27
	v_mov_b32_e32 v3, v49
	v_fmac_f32_e32 v34, 0xbf3504f3, v10
	v_mov_b32_e32 v11, v30
	v_fmac_f32_e32 v41, 0xbf3504f3, v10
	v_fmac_f32_e32 v22, 0xbf3504f3, v26
	;; [unrolled: 1-line block ×3, first 2 shown]
	v_mov_b32_e32 v2, v36
	v_fmac_f32_e32 v11, 0x3ec3ef15, v34
	v_fmac_f32_e32 v41, 0x3f3504f3, v13
	v_fmac_f32_e32 v22, 0x3f3504f3, v24
	v_fma_f32 v26, v54, 2.0, -v30
	v_fmac_f32_e32 v3, 0xbec3ef15, v28
	v_fmac_f32_e32 v2, 0x3f6c835e, v28
	;; [unrolled: 1-line block ×3, first 2 shown]
	v_fma_f32 v24, v27, 2.0, -v22
	v_fma_f32 v28, v31, 2.0, -v34
	v_mov_b32_e32 v27, v26
	v_fma_f32 v13, v30, 2.0, -v11
	v_fmac_f32_e32 v55, 0x3f3504f3, v17
	v_fmac_f32_e32 v27, 0xbf6c835e, v28
	v_fma_f32 v30, v37, 2.0, -v41
	v_fmac_f32_e32 v27, 0xbec3ef15, v30
	v_fma_f32 v31, v43, 2.0, -v55
	v_fma_f32 v29, v26, 2.0, -v27
	v_mov_b32_e32 v26, v31
	v_fmac_f32_e32 v26, 0xbf6c835e, v30
	v_fmac_f32_e32 v26, 0x3ec3ef15, v28
	v_fma_f32 v28, v31, 2.0, -v26
	v_mad_u64_u32 v[30:31], s[0:1], s2, v39, 0
	v_sub_f32_e32 v47, v33, v14
	v_fma_f32 v32, v56, 2.0, -v51
	v_fma_f32 v33, v33, 2.0, -v47
	v_fmac_f32_e32 v2, 0x3ec3ef15, v50
	v_sub_f32_e32 v33, v32, v33
	v_add_u32_e32 v40, 0x50, v39
	v_fma_f32 v4, v36, 2.0, -v2
	v_fma_f32 v35, v32, 2.0, -v33
	v_mad_u64_u32 v[31:32], s[0:1], s3, v39, v[31:32]
	v_mad_u64_u32 v[36:37], s[0:1], s2, v40, 0
	v_mov_b32_e32 v10, v55
	v_fmac_f32_e32 v10, 0x3ec3ef15, v41
	v_add_f32_e32 v14, v38, v47
	v_fmac_f32_e32 v10, 0x3f6c835e, v34
	v_fma_f32 v16, v38, 2.0, -v14
	v_fma_f32 v34, v52, 2.0, -v38
	v_mov_b32_e32 v38, s13
	v_add_co_u32_e32 v41, vcc, s12, v0
	v_addc_co_u32_e32 v38, vcc, v38, v1, vcc
	v_lshlrev_b64 v[0:1], 3, v[30:31]
	v_mov_b32_e32 v30, v37
	v_fma_f32 v32, v57, 2.0, -v58
	v_mad_u64_u32 v[30:31], s[0:1], s3, v40, v[30:31]
	v_sub_f32_e32 v32, v34, v32
	v_add_co_u32_e32 v0, vcc, v41, v0
	v_fma_f32 v34, v34, 2.0, -v32
	v_addc_co_u32_e32 v1, vcc, v38, v1, vcc
	global_store_dwordx2 v[0:1], v[34:35], off
	v_add_u32_e32 v34, 0xa0, v39
	v_mov_b32_e32 v37, v30
	v_mad_u64_u32 v[30:31], s[0:1], s2, v34, 0
	v_lshlrev_b64 v[0:1], 3, v[36:37]
	v_add_u32_e32 v37, 0xf0, v39
	v_mad_u64_u32 v[34:35], s[0:1], s3, v34, v[31:32]
	v_mad_u64_u32 v[35:36], s[0:1], s2, v37, 0
	v_add_co_u32_e32 v0, vcc, v41, v0
	v_addc_co_u32_e32 v1, vcc, v38, v1, vcc
	global_store_dwordx2 v[0:1], v[28:29], off
	v_mov_b32_e32 v28, v36
	v_mov_b32_e32 v31, v34
	v_mad_u64_u32 v[28:29], s[0:1], s3, v37, v[28:29]
	v_lshlrev_b64 v[0:1], 3, v[30:31]
	v_add_u32_e32 v31, 0x190, v39
	v_add_co_u32_e32 v0, vcc, v41, v0
	v_addc_co_u32_e32 v1, vcc, v38, v1, vcc
	v_mov_b32_e32 v36, v28
	v_add_u32_e32 v28, 0x140, v39
	global_store_dwordx2 v[0:1], v[24:25], off
	v_mad_u64_u32 v[24:25], s[0:1], s2, v28, 0
	v_lshlrev_b64 v[0:1], 3, v[35:36]
	v_fma_f32 v20, v20, 2.0, -v18
	v_mad_u64_u32 v[28:29], s[0:1], s3, v28, v[25:26]
	v_mad_u64_u32 v[29:30], s[0:1], s2, v31, 0
	v_add_co_u32_e32 v0, vcc, v41, v0
	v_addc_co_u32_e32 v1, vcc, v38, v1, vcc
	global_store_dwordx2 v[0:1], v[20:21], off
	v_mov_b32_e32 v20, v30
	v_mov_b32_e32 v25, v28
	v_mad_u64_u32 v[20:21], s[0:1], s3, v31, v[20:21]
	v_lshlrev_b64 v[0:1], 3, v[24:25]
	v_sub_f32_e32 v15, v51, v58
	v_add_co_u32_e32 v0, vcc, v41, v0
	v_fma_f32 v17, v51, 2.0, -v15
	v_addc_co_u32_e32 v1, vcc, v38, v1, vcc
	v_mov_b32_e32 v30, v20
	v_add_u32_e32 v20, 0x1e0, v39
	global_store_dwordx2 v[0:1], v[16:17], off
	v_mad_u64_u32 v[16:17], s[0:1], s2, v20, 0
	v_lshlrev_b64 v[0:1], 3, v[29:30]
	v_fma_f32 v12, v55, 2.0, -v10
	v_mad_u64_u32 v[20:21], s[0:1], s3, v20, v[17:18]
	v_add_u32_e32 v21, 0x230, v39
	v_mad_u64_u32 v[24:25], s[0:1], s2, v21, 0
	v_add_co_u32_e32 v0, vcc, v41, v0
	v_addc_co_u32_e32 v1, vcc, v38, v1, vcc
	global_store_dwordx2 v[0:1], v[12:13], off
	v_mov_b32_e32 v12, v25
	v_mov_b32_e32 v17, v20
	v_mad_u64_u32 v[12:13], s[0:1], s3, v21, v[12:13]
	v_mov_b32_e32 v7, v45
	v_mov_b32_e32 v6, v53
	v_lshlrev_b64 v[0:1], 3, v[16:17]
	v_fmac_f32_e32 v7, 0x3f3504f3, v46
	v_fmac_f32_e32 v6, 0x3f3504f3, v48
	v_fmac_f32_e32 v7, 0xbf3504f3, v48
	v_fmac_f32_e32 v6, 0x3f3504f3, v46
	v_add_co_u32_e32 v0, vcc, v41, v0
	v_fma_f32 v9, v45, 2.0, -v7
	v_fma_f32 v8, v53, 2.0, -v6
	v_addc_co_u32_e32 v1, vcc, v38, v1, vcc
	v_mov_b32_e32 v25, v12
	v_or_b32_e32 v12, 0x280, v39
	global_store_dwordx2 v[0:1], v[8:9], off
	v_mad_u64_u32 v[8:9], s[0:1], s2, v12, 0
	v_lshlrev_b64 v[0:1], 3, v[24:25]
	v_fma_f32 v5, v49, 2.0, -v3
	v_mad_u64_u32 v[12:13], s[0:1], s3, v12, v[9:10]
	v_add_u32_e32 v13, 0x2d0, v39
	v_mad_u64_u32 v[16:17], s[0:1], s2, v13, 0
	v_add_co_u32_e32 v0, vcc, v41, v0
	v_addc_co_u32_e32 v1, vcc, v38, v1, vcc
	global_store_dwordx2 v[0:1], v[4:5], off
	v_mov_b32_e32 v4, v17
	v_mad_u64_u32 v[4:5], s[0:1], s3, v13, v[4:5]
	v_mov_b32_e32 v9, v12
	v_lshlrev_b64 v[0:1], 3, v[8:9]
	v_add_u32_e32 v8, 0x320, v39
	v_mov_b32_e32 v17, v4
	v_mad_u64_u32 v[4:5], s[0:1], s2, v8, 0
	v_add_co_u32_e32 v0, vcc, v41, v0
	v_mad_u64_u32 v[8:9], s[0:1], s3, v8, v[5:6]
	v_addc_co_u32_e32 v1, vcc, v38, v1, vcc
	v_add_u32_e32 v9, 0x370, v39
	global_store_dwordx2 v[0:1], v[32:33], off
	v_lshlrev_b64 v[0:1], 3, v[16:17]
	v_mad_u64_u32 v[12:13], s[0:1], s2, v9, 0
	v_add_co_u32_e32 v0, vcc, v41, v0
	v_addc_co_u32_e32 v1, vcc, v38, v1, vcc
	v_mov_b32_e32 v5, v8
	global_store_dwordx2 v[0:1], v[26:27], off
	v_lshlrev_b64 v[0:1], 3, v[4:5]
	v_mov_b32_e32 v4, v13
	v_mad_u64_u32 v[4:5], s[0:1], s3, v9, v[4:5]
	v_add_u32_e32 v8, 0x3c0, v39
	v_add_co_u32_e32 v0, vcc, v41, v0
	v_mov_b32_e32 v13, v4
	v_mad_u64_u32 v[4:5], s[0:1], s2, v8, 0
	v_addc_co_u32_e32 v1, vcc, v38, v1, vcc
	v_mad_u64_u32 v[8:9], s[0:1], s3, v8, v[5:6]
	v_add_u32_e32 v9, 0x410, v39
	global_store_dwordx2 v[0:1], v[22:23], off
	v_lshlrev_b64 v[0:1], 3, v[12:13]
	v_mad_u64_u32 v[12:13], s[0:1], s2, v9, 0
	v_add_co_u32_e32 v0, vcc, v41, v0
	v_addc_co_u32_e32 v1, vcc, v38, v1, vcc
	v_mov_b32_e32 v5, v8
	global_store_dwordx2 v[0:1], v[18:19], off
	v_lshlrev_b64 v[0:1], 3, v[4:5]
	v_mov_b32_e32 v4, v13
	v_mad_u64_u32 v[4:5], s[0:1], s3, v9, v[4:5]
	v_add_u32_e32 v8, 0x460, v39
	v_add_co_u32_e32 v0, vcc, v41, v0
	v_mov_b32_e32 v13, v4
	v_mad_u64_u32 v[4:5], s[0:1], s2, v8, 0
	v_addc_co_u32_e32 v1, vcc, v38, v1, vcc
	v_mad_u64_u32 v[8:9], s[0:1], s3, v8, v[5:6]
	v_add_u32_e32 v9, 0x4b0, v39
	global_store_dwordx2 v[0:1], v[14:15], off
	v_lshlrev_b64 v[0:1], 3, v[12:13]
	v_mad_u64_u32 v[12:13], s[0:1], s2, v9, 0
	v_add_co_u32_e32 v0, vcc, v41, v0
	v_addc_co_u32_e32 v1, vcc, v38, v1, vcc
	v_mov_b32_e32 v5, v8
	global_store_dwordx2 v[0:1], v[10:11], off
	v_lshlrev_b64 v[0:1], 3, v[4:5]
	v_mov_b32_e32 v4, v13
	v_mad_u64_u32 v[4:5], s[0:1], s3, v9, v[4:5]
	v_add_co_u32_e32 v0, vcc, v41, v0
	v_addc_co_u32_e32 v1, vcc, v38, v1, vcc
	v_mov_b32_e32 v13, v4
	global_store_dwordx2 v[0:1], v[6:7], off
	v_lshlrev_b64 v[0:1], 3, v[12:13]
	v_add_co_u32_e32 v0, vcc, v41, v0
	v_addc_co_u32_e32 v1, vcc, v38, v1, vcc
	global_store_dwordx2 v[0:1], v[2:3], off
.LBB0_23:
	s_endpgm
	.section	.rodata,"a",@progbits
	.p2align	6, 0x0
	.amdhsa_kernel fft_rtc_back_len1280_factors_16_5_16_wgs_80_tpt_80_halfLds_sp_ip_CI_sbrr_dirReg
		.amdhsa_group_segment_fixed_size 0
		.amdhsa_private_segment_fixed_size 0
		.amdhsa_kernarg_size 88
		.amdhsa_user_sgpr_count 6
		.amdhsa_user_sgpr_private_segment_buffer 1
		.amdhsa_user_sgpr_dispatch_ptr 0
		.amdhsa_user_sgpr_queue_ptr 0
		.amdhsa_user_sgpr_kernarg_segment_ptr 1
		.amdhsa_user_sgpr_dispatch_id 0
		.amdhsa_user_sgpr_flat_scratch_init 0
		.amdhsa_user_sgpr_private_segment_size 0
		.amdhsa_uses_dynamic_stack 0
		.amdhsa_system_sgpr_private_segment_wavefront_offset 0
		.amdhsa_system_sgpr_workgroup_id_x 1
		.amdhsa_system_sgpr_workgroup_id_y 0
		.amdhsa_system_sgpr_workgroup_id_z 0
		.amdhsa_system_sgpr_workgroup_info 0
		.amdhsa_system_vgpr_workitem_id 0
		.amdhsa_next_free_vgpr 77
		.amdhsa_next_free_sgpr 24
		.amdhsa_reserve_vcc 1
		.amdhsa_reserve_flat_scratch 0
		.amdhsa_float_round_mode_32 0
		.amdhsa_float_round_mode_16_64 0
		.amdhsa_float_denorm_mode_32 3
		.amdhsa_float_denorm_mode_16_64 3
		.amdhsa_dx10_clamp 1
		.amdhsa_ieee_mode 1
		.amdhsa_fp16_overflow 0
		.amdhsa_exception_fp_ieee_invalid_op 0
		.amdhsa_exception_fp_denorm_src 0
		.amdhsa_exception_fp_ieee_div_zero 0
		.amdhsa_exception_fp_ieee_overflow 0
		.amdhsa_exception_fp_ieee_underflow 0
		.amdhsa_exception_fp_ieee_inexact 0
		.amdhsa_exception_int_div_zero 0
	.end_amdhsa_kernel
	.text
.Lfunc_end0:
	.size	fft_rtc_back_len1280_factors_16_5_16_wgs_80_tpt_80_halfLds_sp_ip_CI_sbrr_dirReg, .Lfunc_end0-fft_rtc_back_len1280_factors_16_5_16_wgs_80_tpt_80_halfLds_sp_ip_CI_sbrr_dirReg
                                        ; -- End function
	.section	.AMDGPU.csdata,"",@progbits
; Kernel info:
; codeLenInByte = 8552
; NumSgprs: 28
; NumVgprs: 77
; ScratchSize: 0
; MemoryBound: 0
; FloatMode: 240
; IeeeMode: 1
; LDSByteSize: 0 bytes/workgroup (compile time only)
; SGPRBlocks: 3
; VGPRBlocks: 19
; NumSGPRsForWavesPerEU: 28
; NumVGPRsForWavesPerEU: 77
; Occupancy: 3
; WaveLimiterHint : 1
; COMPUTE_PGM_RSRC2:SCRATCH_EN: 0
; COMPUTE_PGM_RSRC2:USER_SGPR: 6
; COMPUTE_PGM_RSRC2:TRAP_HANDLER: 0
; COMPUTE_PGM_RSRC2:TGID_X_EN: 1
; COMPUTE_PGM_RSRC2:TGID_Y_EN: 0
; COMPUTE_PGM_RSRC2:TGID_Z_EN: 0
; COMPUTE_PGM_RSRC2:TIDIG_COMP_CNT: 0
	.type	__hip_cuid_d2f7f577b12f7099,@object ; @__hip_cuid_d2f7f577b12f7099
	.section	.bss,"aw",@nobits
	.globl	__hip_cuid_d2f7f577b12f7099
__hip_cuid_d2f7f577b12f7099:
	.byte	0                               ; 0x0
	.size	__hip_cuid_d2f7f577b12f7099, 1

	.ident	"AMD clang version 19.0.0git (https://github.com/RadeonOpenCompute/llvm-project roc-6.4.0 25133 c7fe45cf4b819c5991fe208aaa96edf142730f1d)"
	.section	".note.GNU-stack","",@progbits
	.addrsig
	.addrsig_sym __hip_cuid_d2f7f577b12f7099
	.amdgpu_metadata
---
amdhsa.kernels:
  - .args:
      - .actual_access:  read_only
        .address_space:  global
        .offset:         0
        .size:           8
        .value_kind:     global_buffer
      - .offset:         8
        .size:           8
        .value_kind:     by_value
      - .actual_access:  read_only
        .address_space:  global
        .offset:         16
        .size:           8
        .value_kind:     global_buffer
      - .actual_access:  read_only
        .address_space:  global
        .offset:         24
        .size:           8
        .value_kind:     global_buffer
      - .offset:         32
        .size:           8
        .value_kind:     by_value
      - .actual_access:  read_only
        .address_space:  global
        .offset:         40
        .size:           8
        .value_kind:     global_buffer
      - .actual_access:  read_only
        .address_space:  global
        .offset:         48
        .size:           8
        .value_kind:     global_buffer
      - .offset:         56
        .size:           4
        .value_kind:     by_value
      - .actual_access:  read_only
        .address_space:  global
        .offset:         64
        .size:           8
        .value_kind:     global_buffer
      - .actual_access:  read_only
        .address_space:  global
        .offset:         72
        .size:           8
        .value_kind:     global_buffer
      - .address_space:  global
        .offset:         80
        .size:           8
        .value_kind:     global_buffer
    .group_segment_fixed_size: 0
    .kernarg_segment_align: 8
    .kernarg_segment_size: 88
    .language:       OpenCL C
    .language_version:
      - 2
      - 0
    .max_flat_workgroup_size: 80
    .name:           fft_rtc_back_len1280_factors_16_5_16_wgs_80_tpt_80_halfLds_sp_ip_CI_sbrr_dirReg
    .private_segment_fixed_size: 0
    .sgpr_count:     28
    .sgpr_spill_count: 0
    .symbol:         fft_rtc_back_len1280_factors_16_5_16_wgs_80_tpt_80_halfLds_sp_ip_CI_sbrr_dirReg.kd
    .uniform_work_group_size: 1
    .uses_dynamic_stack: false
    .vgpr_count:     77
    .vgpr_spill_count: 0
    .wavefront_size: 64
amdhsa.target:   amdgcn-amd-amdhsa--gfx906
amdhsa.version:
  - 1
  - 2
...

	.end_amdgpu_metadata
